;; amdgpu-corpus repo=ROCm/rocFFT kind=compiled arch=gfx906 opt=O3
	.text
	.amdgcn_target "amdgcn-amd-amdhsa--gfx906"
	.amdhsa_code_object_version 6
	.protected	fft_rtc_fwd_len256_factors_8_4_8_wgs_256_tpt_32_sp_ip_CI_sbcc_twdbase5_3step_dirReg_intrinsicReadWrite ; -- Begin function fft_rtc_fwd_len256_factors_8_4_8_wgs_256_tpt_32_sp_ip_CI_sbcc_twdbase5_3step_dirReg_intrinsicReadWrite
	.globl	fft_rtc_fwd_len256_factors_8_4_8_wgs_256_tpt_32_sp_ip_CI_sbcc_twdbase5_3step_dirReg_intrinsicReadWrite
	.p2align	8
	.type	fft_rtc_fwd_len256_factors_8_4_8_wgs_256_tpt_32_sp_ip_CI_sbcc_twdbase5_3step_dirReg_intrinsicReadWrite,@function
fft_rtc_fwd_len256_factors_8_4_8_wgs_256_tpt_32_sp_ip_CI_sbcc_twdbase5_3step_dirReg_intrinsicReadWrite: ; @fft_rtc_fwd_len256_factors_8_4_8_wgs_256_tpt_32_sp_ip_CI_sbcc_twdbase5_3step_dirReg_intrinsicReadWrite
; %bb.0:
	s_load_dwordx8 s[8:15], s[4:5], 0x8
	s_movk_i32 s0, 0x60
	v_cmp_gt_u32_e32 vcc, s0, v0
	s_and_saveexec_b64 s[0:1], vcc
	s_cbranch_execz .LBB0_2
; %bb.1:
	v_lshlrev_b32_e32 v3, 3, v0
	s_waitcnt lgkmcnt(0)
	global_load_dwordx2 v[1:2], v3, s[8:9]
	v_add_u32_e32 v3, 0, v3
	s_waitcnt vmcnt(0)
	ds_write_b64 v3, v[1:2] offset:16384
.LBB0_2:
	s_or_b64 exec, exec, s[0:1]
	s_waitcnt lgkmcnt(0)
	s_load_dwordx2 s[20:21], s[12:13], 0x8
	s_mov_b32 s7, 0
	s_mov_b64 s[24:25], 0
	s_waitcnt lgkmcnt(0)
	s_add_u32 s0, s20, -1
	s_addc_u32 s1, s21, -1
	s_lshr_b64 s[0:1], s[0:1], 3
	s_add_u32 s22, s0, 1
	s_addc_u32 s23, s1, 0
	v_mov_b32_e32 v1, s22
	v_mov_b32_e32 v2, s23
	v_cmp_lt_u64_e32 vcc, s[6:7], v[1:2]
	s_cbranch_vccnz .LBB0_4
; %bb.3:
	v_cvt_f32_u32_e32 v1, s22
	s_sub_i32 s0, 0, s22
	s_mov_b32 s25, s7
	v_rcp_iflag_f32_e32 v1, v1
	v_mul_f32_e32 v1, 0x4f7ffffe, v1
	v_cvt_u32_f32_e32 v1, v1
	v_readfirstlane_b32 s1, v1
	s_mul_i32 s0, s0, s1
	s_mul_hi_u32 s0, s1, s0
	s_add_i32 s1, s1, s0
	s_mul_hi_u32 s0, s6, s1
	s_mul_i32 s2, s0, s22
	s_sub_i32 s2, s6, s2
	s_add_i32 s1, s0, 1
	s_sub_i32 s3, s2, s22
	s_cmp_ge_u32 s2, s22
	s_cselect_b32 s0, s1, s0
	s_cselect_b32 s2, s3, s2
	s_add_i32 s1, s0, 1
	s_cmp_ge_u32 s2, s22
	s_cselect_b32 s24, s1, s0
.LBB0_4:
	s_load_dwordx4 s[16:19], s[14:15], 0x0
	s_mul_i32 s0, s24, s23
	s_mul_hi_u32 s1, s24, s22
	s_add_i32 s1, s1, s0
	s_mul_i32 s0, s24, s22
	s_sub_u32 s0, s6, s0
	s_subb_u32 s1, 0, s1
	v_mov_b32_e32 v1, s0
	v_alignbit_b32 v1, s1, v1, 29
	s_waitcnt lgkmcnt(0)
	v_mul_lo_u32 v1, s18, v1
	s_load_dwordx2 s[8:9], s[4:5], 0x58
	s_load_dwordx2 s[2:3], s[4:5], 0x0
	s_lshl_b64 s[4:5], s[0:1], 3
	s_mul_hi_u32 s0, s18, s4
	v_add_u32_e32 v1, s0, v1
	s_mul_i32 s0, s19, s4
	v_add_u32_e32 v4, s0, v1
	v_cmp_lt_u64_e64 s[0:1], s[10:11], 3
	s_mul_i32 s17, s18, s4
	v_mov_b32_e32 v3, s17
	s_and_b64 vcc, exec, s[0:1]
	s_cbranch_vccnz .LBB0_13
; %bb.5:
	s_add_u32 s26, s14, 16
	s_addc_u32 s27, s15, 0
	s_add_u32 s12, s12, 16
	v_mov_b32_e32 v1, s10
	s_addc_u32 s13, s13, 0
	s_mov_b64 s[28:29], 2
	s_mov_b32 s30, 0
	v_mov_b32_e32 v2, s11
	s_branch .LBB0_7
.LBB0_6:                                ;   in Loop: Header=BB0_7 Depth=1
	s_mul_i32 s17, s34, s23
	s_mul_hi_u32 s19, s34, s22
	s_add_i32 s17, s19, s17
	s_mul_i32 s19, s35, s22
	s_add_i32 s23, s17, s19
	s_mul_i32 s17, s0, s35
	s_mul_hi_u32 s19, s0, s34
	s_load_dwordx2 s[36:37], s[26:27], 0x0
	s_add_i32 s17, s19, s17
	s_mul_i32 s19, s1, s34
	s_add_i32 s17, s17, s19
	s_mul_i32 s19, s0, s34
	s_sub_u32 s19, s24, s19
	s_subb_u32 s17, s25, s17
	s_waitcnt lgkmcnt(0)
	s_mul_i32 s17, s36, s17
	s_mul_hi_u32 s24, s36, s19
	s_add_i32 s17, s24, s17
	s_mul_i32 s24, s37, s19
	s_add_i32 s17, s17, s24
	s_mul_i32 s19, s36, s19
	s_add_u32 s28, s28, 1
	v_mov_b32_e32 v5, s17
	v_add_co_u32_e32 v3, vcc, s19, v3
	s_addc_u32 s29, s29, 0
	v_addc_co_u32_e32 v4, vcc, v5, v4, vcc
	s_add_u32 s26, s26, 8
	s_addc_u32 s27, s27, 0
	v_cmp_ge_u64_e32 vcc, s[28:29], v[1:2]
	s_add_u32 s12, s12, 8
	s_mul_i32 s22, s34, s22
	s_addc_u32 s13, s13, 0
	s_mov_b64 s[24:25], s[0:1]
	s_cbranch_vccnz .LBB0_11
.LBB0_7:                                ; =>This Inner Loop Header: Depth=1
	s_load_dwordx2 s[34:35], s[12:13], 0x0
	s_waitcnt lgkmcnt(0)
	s_or_b64 s[0:1], s[24:25], s[34:35]
	s_mov_b32 s31, s1
	s_cmp_lg_u64 s[30:31], 0
	s_cbranch_scc0 .LBB0_9
; %bb.8:                                ;   in Loop: Header=BB0_7 Depth=1
	v_cvt_f32_u32_e32 v5, s34
	v_cvt_f32_u32_e32 v6, s35
	s_sub_u32 s0, 0, s34
	s_subb_u32 s1, 0, s35
	v_mac_f32_e32 v5, 0x4f800000, v6
	v_rcp_f32_e32 v5, v5
	v_mul_f32_e32 v5, 0x5f7ffffc, v5
	v_mul_f32_e32 v6, 0x2f800000, v5
	v_trunc_f32_e32 v6, v6
	v_mac_f32_e32 v5, 0xcf800000, v6
	v_cvt_u32_f32_e32 v6, v6
	v_cvt_u32_f32_e32 v5, v5
	v_readfirstlane_b32 s17, v6
	v_readfirstlane_b32 s19, v5
	s_mul_i32 s31, s0, s17
	s_mul_hi_u32 s36, s0, s19
	s_mul_i32 s33, s1, s19
	s_add_i32 s31, s36, s31
	s_mul_i32 s37, s0, s19
	s_add_i32 s31, s31, s33
	s_mul_hi_u32 s33, s19, s31
	s_mul_i32 s36, s19, s31
	s_mul_hi_u32 s19, s19, s37
	s_add_u32 s19, s19, s36
	s_addc_u32 s33, 0, s33
	s_mul_hi_u32 s38, s17, s37
	s_mul_i32 s37, s17, s37
	s_add_u32 s19, s19, s37
	s_mul_hi_u32 s36, s17, s31
	s_addc_u32 s19, s33, s38
	s_addc_u32 s33, s36, 0
	s_mul_i32 s31, s17, s31
	s_add_u32 s19, s19, s31
	s_addc_u32 s31, 0, s33
	v_add_co_u32_e32 v5, vcc, s19, v5
	s_cmp_lg_u64 vcc, 0
	s_addc_u32 s17, s17, s31
	v_readfirstlane_b32 s31, v5
	s_mul_i32 s19, s0, s17
	s_mul_hi_u32 s33, s0, s31
	s_add_i32 s19, s33, s19
	s_mul_i32 s1, s1, s31
	s_add_i32 s19, s19, s1
	s_mul_i32 s0, s0, s31
	s_mul_hi_u32 s33, s17, s0
	s_mul_i32 s36, s17, s0
	s_mul_i32 s38, s31, s19
	s_mul_hi_u32 s0, s31, s0
	s_mul_hi_u32 s37, s31, s19
	s_add_u32 s0, s0, s38
	s_addc_u32 s31, 0, s37
	s_add_u32 s0, s0, s36
	s_mul_hi_u32 s1, s17, s19
	s_addc_u32 s0, s31, s33
	s_addc_u32 s1, s1, 0
	s_mul_i32 s19, s17, s19
	s_add_u32 s0, s0, s19
	s_addc_u32 s1, 0, s1
	v_add_co_u32_e32 v5, vcc, s0, v5
	s_cmp_lg_u64 vcc, 0
	s_addc_u32 s0, s17, s1
	v_readfirstlane_b32 s19, v5
	s_mul_i32 s17, s24, s0
	s_mul_hi_u32 s31, s24, s19
	s_mul_hi_u32 s1, s24, s0
	s_add_u32 s17, s31, s17
	s_addc_u32 s1, 0, s1
	s_mul_hi_u32 s33, s25, s19
	s_mul_i32 s19, s25, s19
	s_add_u32 s17, s17, s19
	s_mul_hi_u32 s31, s25, s0
	s_addc_u32 s1, s1, s33
	s_addc_u32 s17, s31, 0
	s_mul_i32 s0, s25, s0
	s_add_u32 s19, s1, s0
	s_addc_u32 s17, 0, s17
	s_mul_i32 s0, s34, s17
	s_mul_hi_u32 s1, s34, s19
	s_add_i32 s0, s1, s0
	s_mul_i32 s1, s35, s19
	s_add_i32 s31, s0, s1
	s_mul_i32 s1, s34, s19
	v_mov_b32_e32 v5, s1
	s_sub_i32 s0, s25, s31
	v_sub_co_u32_e32 v5, vcc, s24, v5
	s_cmp_lg_u64 vcc, 0
	s_subb_u32 s33, s0, s35
	v_subrev_co_u32_e64 v6, s[0:1], s34, v5
	s_cmp_lg_u64 s[0:1], 0
	s_subb_u32 s0, s33, 0
	s_cmp_ge_u32 s0, s35
	v_readfirstlane_b32 s33, v6
	s_cselect_b32 s1, -1, 0
	s_cmp_ge_u32 s33, s34
	s_cselect_b32 s33, -1, 0
	s_cmp_eq_u32 s0, s35
	s_cselect_b32 s0, s33, s1
	s_add_u32 s1, s19, 1
	s_addc_u32 s33, s17, 0
	s_add_u32 s36, s19, 2
	s_addc_u32 s37, s17, 0
	s_cmp_lg_u32 s0, 0
	s_cselect_b32 s0, s36, s1
	s_cselect_b32 s1, s37, s33
	s_cmp_lg_u64 vcc, 0
	s_subb_u32 s31, s25, s31
	s_cmp_ge_u32 s31, s35
	v_readfirstlane_b32 s36, v5
	s_cselect_b32 s33, -1, 0
	s_cmp_ge_u32 s36, s34
	s_cselect_b32 s36, -1, 0
	s_cmp_eq_u32 s31, s35
	s_cselect_b32 s31, s36, s33
	s_cmp_lg_u32 s31, 0
	s_cselect_b32 s1, s1, s17
	s_cselect_b32 s0, s0, s19
	s_cbranch_execnz .LBB0_6
	s_branch .LBB0_10
.LBB0_9:                                ;   in Loop: Header=BB0_7 Depth=1
                                        ; implicit-def: $sgpr0_sgpr1
.LBB0_10:                               ;   in Loop: Header=BB0_7 Depth=1
	v_cvt_f32_u32_e32 v5, s34
	s_sub_i32 s0, 0, s34
	v_rcp_iflag_f32_e32 v5, v5
	v_mul_f32_e32 v5, 0x4f7ffffe, v5
	v_cvt_u32_f32_e32 v5, v5
	v_readfirstlane_b32 s1, v5
	s_mul_i32 s0, s0, s1
	s_mul_hi_u32 s0, s1, s0
	s_add_i32 s1, s1, s0
	s_mul_hi_u32 s0, s24, s1
	s_mul_i32 s17, s0, s34
	s_sub_i32 s17, s24, s17
	s_add_i32 s1, s0, 1
	s_sub_i32 s19, s17, s34
	s_cmp_ge_u32 s17, s34
	s_cselect_b32 s0, s1, s0
	s_cselect_b32 s17, s19, s17
	s_add_i32 s1, s0, 1
	s_cmp_ge_u32 s17, s34
	s_cselect_b32 s0, s1, s0
	s_mov_b32 s1, s30
	s_branch .LBB0_6
.LBB0_11:
	v_mov_b32_e32 v1, s22
	v_mov_b32_e32 v2, s23
	v_cmp_lt_u64_e32 vcc, s[6:7], v[1:2]
	s_mov_b64 s[24:25], 0
	s_cbranch_vccnz .LBB0_13
; %bb.12:
	v_cvt_f32_u32_e32 v1, s22
	s_sub_i32 s0, 0, s22
	v_rcp_iflag_f32_e32 v1, v1
	v_mul_f32_e32 v1, 0x4f7ffffe, v1
	v_cvt_u32_f32_e32 v1, v1
	v_readfirstlane_b32 s1, v1
	s_mul_i32 s0, s0, s1
	s_mul_hi_u32 s0, s1, s0
	s_add_i32 s1, s1, s0
	s_mul_hi_u32 s0, s6, s1
	s_mul_i32 s7, s0, s22
	s_sub_i32 s6, s6, s7
	s_add_i32 s1, s0, 1
	s_sub_i32 s7, s6, s22
	s_cmp_ge_u32 s6, s22
	s_cselect_b32 s0, s1, s0
	s_cselect_b32 s6, s7, s6
	s_add_i32 s1, s0, 1
	s_cmp_ge_u32 s6, s22
	s_cselect_b32 s24, s1, s0
.LBB0_13:
	s_lshl_b64 s[0:1], s[10:11], 3
	s_add_u32 s0, s14, s0
	s_addc_u32 s1, s15, s1
	s_load_dword s1, s[0:1], 0x0
	v_and_b32_e32 v9, 7, v0
	s_add_u32 s0, s4, 8
	v_mul_lo_u32 v17, s18, v9
	v_mov_b32_e32 v4, s20
	s_waitcnt lgkmcnt(0)
	s_mul_i32 s1, s1, s24
	v_add_u32_e32 v6, s1, v3
	v_lshrrev_b32_e32 v3, 3, v0
	v_mul_lo_u32 v7, s16, v3
	v_mov_b32_e32 v2, s5
	v_or_b32_e32 v1, s4, v9
	s_addc_u32 s1, s5, 0
	v_mov_b32_e32 v5, s21
	v_cmp_le_u64_e32 vcc, s[0:1], v[4:5]
	v_cmp_gt_u64_e64 s[0:1], s[20:21], v[1:2]
	v_add_lshl_u32 v2, v17, v7, 3
	s_or_b64 vcc, vcc, s[0:1]
	v_or_b32_e32 v4, 32, v3
	v_lshlrev_b32_e32 v5, 3, v6
	v_cndmask_b32_e32 v11, -1, v2, vcc
	v_mul_lo_u32 v2, s16, v4
	v_or_b32_e32 v6, 64, v3
	v_mul_lo_u32 v6, s16, v6
	v_readfirstlane_b32 s0, v5
	v_add_lshl_u32 v2, v17, v2, 3
	v_cndmask_b32_e32 v13, -1, v2, vcc
	v_add_lshl_u32 v2, v17, v6, 3
	v_or_b32_e32 v6, 0x60, v3
	v_mul_lo_u32 v5, s16, v6
	v_or_b32_e32 v7, 0x80, v3
	v_mul_lo_u32 v7, s16, v7
	v_cndmask_b32_e32 v12, -1, v2, vcc
	v_add_lshl_u32 v2, v17, v5, 3
	v_or_b32_e32 v5, 0xa0, v3
	v_cndmask_b32_e32 v10, -1, v2, vcc
	v_add_lshl_u32 v2, v17, v7, 3
	v_mul_lo_u32 v5, s16, v5
	v_or_b32_e32 v7, 0xc0, v3
	v_mul_lo_u32 v7, s16, v7
	v_cndmask_b32_e32 v15, -1, v2, vcc
	v_add_lshl_u32 v2, v17, v5, 3
	v_cndmask_b32_e32 v14, -1, v2, vcc
	v_add_lshl_u32 v2, v17, v7, 3
	v_or_b32_e32 v18, 0xe0, v3
	v_cndmask_b32_e32 v16, -1, v2, vcc
	v_mul_lo_u32 v2, s16, v18
	s_mov_b32 s11, 0x20000
	s_mov_b32 s10, -2
	buffer_load_dwordx2 v[7:8], v15, s[8:11], s0 offen
	buffer_load_dwordx2 v[19:20], v14, s[8:11], s0 offen
	;; [unrolled: 1-line block ×3, first 2 shown]
	v_add_lshl_u32 v2, v17, v2, 3
	v_cndmask_b32_e32 v17, -1, v2, vcc
	buffer_load_dwordx2 v[23:24], v11, s[8:11], s0 offen
	buffer_load_dwordx2 v[25:26], v13, s[8:11], s0 offen
	buffer_load_dwordx2 v[27:28], v12, s[8:11], s0 offen
	buffer_load_dwordx2 v[29:30], v10, s[8:11], s0 offen
	buffer_load_dwordx2 v[31:32], v17, s[8:11], s0 offen
	v_lshlrev_b32_e32 v9, 3, v9
	s_movk_i32 s1, 0xfe40
	s_movk_i32 s4, 0x60
	v_mul_lo_u32 v6, v6, v1
	s_waitcnt vmcnt(4)
	v_sub_f32_e32 v2, v23, v7
	s_waitcnt vmcnt(3)
	v_sub_f32_e32 v19, v25, v19
	;; [unrolled: 2-line block ×3, first 2 shown]
	v_sub_f32_e32 v5, v24, v8
	s_waitcnt vmcnt(0)
	v_sub_f32_e32 v21, v29, v31
	v_sub_f32_e32 v8, v28, v22
	;; [unrolled: 1-line block ×3, first 2 shown]
	v_fma_f32 v23, v23, 2.0, -v2
	v_fma_f32 v27, v27, 2.0, -v7
	;; [unrolled: 1-line block ×4, first 2 shown]
	v_sub_f32_e32 v33, v19, v22
	v_sub_f32_e32 v27, v23, v27
	;; [unrolled: 1-line block ×4, first 2 shown]
	v_fma_f32 v28, v28, 2.0, -v8
	v_sub_f32_e32 v31, v2, v8
	v_add_f32_e32 v32, v5, v7
	v_fma_f32 v35, v19, 2.0, -v33
	v_fma_f32 v8, v23, 2.0, -v27
	;; [unrolled: 1-line block ×4, first 2 shown]
	v_add_f32_e32 v34, v20, v21
	v_fma_f32 v2, v2, 2.0, -v31
	v_fma_f32 v5, v5, 2.0, -v32
	v_sub_f32_e32 v19, v8, v19
	v_fma_f32 v26, v26, 2.0, -v20
	v_fma_f32 v30, v30, 2.0, -v22
	;; [unrolled: 1-line block ×3, first 2 shown]
	v_mov_b32_e32 v7, v2
	v_fma_f32 v21, v8, 2.0, -v19
	v_mov_b32_e32 v8, v5
	v_sub_f32_e32 v28, v24, v28
	v_sub_f32_e32 v30, v26, v30
	v_fmac_f32_e32 v7, 0xbf3504f3, v35
	v_fmac_f32_e32 v8, 0xbf3504f3, v36
	v_fma_f32 v22, v24, 2.0, -v28
	v_fma_f32 v20, v26, 2.0, -v30
	v_fmac_f32_e32 v7, 0xbf3504f3, v36
	v_fmac_f32_e32 v8, 0x3f3504f3, v35
	v_sub_f32_e32 v25, v27, v30
	v_add_f32_e32 v26, v28, v29
	v_mov_b32_e32 v29, v31
	v_mov_b32_e32 v30, v32
	v_bfe_u32 v35, v0, 3, 3
	v_sub_f32_e32 v20, v22, v20
	v_fma_f32 v23, v2, 2.0, -v7
	v_fma_f32 v24, v5, 2.0, -v8
	v_fmac_f32_e32 v29, 0x3f3504f3, v33
	v_fmac_f32_e32 v30, 0x3f3504f3, v34
	v_lshlrev_b32_e32 v2, 9, v3
	v_mul_u32_u24_e32 v5, 3, v35
	v_fma_f32 v22, v22, 2.0, -v20
	v_fmac_f32_e32 v29, 0xbf3504f3, v34
	v_fmac_f32_e32 v30, 0x3f3504f3, v33
	v_add3_u32 v2, 0, v2, v9
	v_lshlrev_b32_e32 v5, 3, v5
	v_fma_f32 v27, v27, 2.0, -v25
	v_fma_f32 v28, v28, 2.0, -v26
	v_fma_f32 v31, v31, 2.0, -v29
	v_fma_f32 v32, v32, 2.0, -v30
	ds_write2_b64 v2, v[21:22], v[23:24] offset1:8
	ds_write2_b64 v2, v[27:28], v[31:32] offset0:16 offset1:24
	ds_write2_b64 v2, v[19:20], v[7:8] offset0:32 offset1:40
	;; [unrolled: 1-line block ×3, first 2 shown]
	s_waitcnt lgkmcnt(0)
	s_barrier
	global_load_dwordx4 v[19:22], v5, s[2:3]
	global_load_dwordx2 v[7:8], v5, s[2:3] offset:16
	v_mad_i32_i24 v2, v3, s1, v2
	ds_read2st64_b64 v[27:30], v2 offset0:12 offset1:16
	ds_read2st64_b64 v[23:26], v2 offset1:8
	ds_read2st64_b64 v[31:34], v2 offset0:20 offset1:24
	v_lshlrev_b32_e32 v5, 6, v4
	v_add3_u32 v5, 0, v5, v9
	v_lshrrev_b32_e32 v0, 1, v0
	v_and_or_b32 v0, v0, s4, v35
	v_lshlrev_b32_e32 v0, 6, v0
	v_add3_u32 v0, 0, v0, v9
	s_movk_i32 s1, 0xe0
	s_waitcnt vmcnt(1) lgkmcnt(2)
	v_mul_f32_e32 v41, v20, v27
	s_waitcnt lgkmcnt(1)
	v_mul_f32_e32 v36, v20, v26
	v_mul_f32_e32 v37, v20, v25
	;; [unrolled: 1-line block ×5, first 2 shown]
	s_waitcnt lgkmcnt(0)
	v_mul_f32_e32 v20, v22, v32
	v_fmac_f32_e32 v41, v19, v28
	v_mul_f32_e32 v28, v22, v31
	v_fma_f32 v29, v21, v29, -v38
	v_fmac_f32_e32 v39, v21, v30
	v_fma_f32 v27, v19, v27, -v40
	v_fma_f32 v25, v19, v25, -v36
	v_fmac_f32_e32 v37, v19, v26
	v_fma_f32 v26, v21, v31, -v20
	v_fmac_f32_e32 v28, v21, v32
	ds_read_b64 v[19:20], v5
	ds_read_b64 v[21:22], v2 offset:14336
	s_waitcnt vmcnt(0)
	v_mul_f32_e32 v30, v8, v34
	v_mul_f32_e32 v31, v8, v33
	v_fma_f32 v30, v7, v33, -v30
	v_fmac_f32_e32 v31, v7, v34
	s_waitcnt lgkmcnt(0)
	v_mul_f32_e32 v32, v8, v22
	v_mul_f32_e32 v33, v8, v21
	v_fma_f32 v32, v7, v21, -v32
	v_fmac_f32_e32 v33, v7, v22
	v_sub_f32_e32 v29, v23, v29
	v_sub_f32_e32 v34, v24, v39
	;; [unrolled: 1-line block ×6, first 2 shown]
	v_fma_f32 v26, v23, 2.0, -v29
	v_fma_f32 v28, v24, 2.0, -v34
	;; [unrolled: 1-line block ×4, first 2 shown]
	v_sub_f32_e32 v7, v29, v7
	v_add_f32_e32 v8, v34, v8
	v_sub_f32_e32 v21, v26, v21
	v_sub_f32_e32 v22, v28, v22
	v_fma_f32 v23, v29, 2.0, -v7
	v_fma_f32 v24, v34, 2.0, -v8
	;; [unrolled: 1-line block ×4, first 2 shown]
	v_sub_f32_e32 v32, v27, v32
	v_fma_f32 v30, v19, 2.0, -v31
	v_sub_f32_e32 v29, v41, v33
	v_fma_f32 v19, v27, 2.0, -v32
	s_barrier
	ds_write2st64_b64 v0, v[25:26], v[23:24] offset1:1
	ds_write2st64_b64 v0, v[21:22], v[7:8] offset0:2 offset1:3
	v_lshlrev_b32_e32 v0, 2, v4
	v_fma_f32 v28, v20, 2.0, -v36
	v_fma_f32 v20, v41, 2.0, -v29
	v_sub_f32_e32 v19, v30, v19
	v_and_or_b32 v0, v0, s1, v35
	v_sub_f32_e32 v20, v28, v20
	v_fma_f32 v27, v30, 2.0, -v19
	v_sub_f32_e32 v29, v31, v29
	v_add_f32_e32 v30, v36, v32
	v_lshlrev_b32_e32 v0, 6, v0
	v_fma_f32 v28, v28, 2.0, -v20
	v_fma_f32 v31, v31, 2.0, -v29
	;; [unrolled: 1-line block ×3, first 2 shown]
	v_add3_u32 v0, 0, v0, v9
	ds_write2st64_b64 v0, v[27:28], v[31:32] offset1:1
	ds_write2st64_b64 v0, v[19:20], v[29:30] offset0:2 offset1:3
	v_mul_u32_u24_e32 v0, 7, v3
	v_lshlrev_b32_e32 v0, 3, v0
	s_waitcnt lgkmcnt(0)
	s_barrier
	global_load_dwordx4 v[19:22], v0, s[2:3] offset:208
	global_load_dwordx4 v[23:26], v0, s[2:3] offset:224
	;; [unrolled: 1-line block ×3, first 2 shown]
	global_load_dwordx2 v[7:8], v0, s[2:3] offset:240
	v_mul_lo_u32 v0, v3, v1
	ds_read2st64_b64 v[31:34], v2 offset0:12 offset1:16
	ds_read2st64_b64 v[35:38], v2 offset0:20 offset1:24
	v_lshlrev_b32_e32 v9, 5, v1
	v_and_b32_e32 v3, 31, v0
	v_lshl_add_u32 v40, v3, 3, 0
	v_add_u32_e32 v39, v0, v9
	s_add_i32 s1, 0, 0x4000
	s_waitcnt vmcnt(3) lgkmcnt(1)
	v_mul_f32_e32 v3, v20, v32
	v_mul_f32_e32 v41, v20, v31
	;; [unrolled: 1-line block ×3, first 2 shown]
	v_fma_f32 v31, v19, v31, -v3
	v_fmac_f32_e32 v41, v19, v32
	v_fma_f32 v19, v21, v33, -v4
	s_waitcnt vmcnt(2) lgkmcnt(0)
	v_mul_f32_e32 v3, v24, v36
	v_mul_f32_e32 v43, v24, v35
	;; [unrolled: 1-line block ×5, first 2 shown]
	v_fma_f32 v35, v23, v35, -v3
	v_fmac_f32_e32 v43, v23, v36
	v_fma_f32 v36, v25, v37, -v4
	ds_read_b64 v[3:4], v5
	v_fmac_f32_e32 v42, v21, v34
	v_fmac_f32_e32 v44, v25, v38
	ds_read_b64 v[25:26], v2 offset:14336
	ds_read2st64_b64 v[21:24], v2 offset1:8
	v_add_u32_e32 v32, v39, v9
	v_lshl_add_u32 v33, v1, 6, v32
	v_add_u32_e32 v34, v33, v9
	v_add_u32_e32 v20, v34, v9
	s_waitcnt vmcnt(1) lgkmcnt(2)
	v_mul_f32_e32 v2, v28, v4
	v_mul_f32_e32 v9, v28, v3
	s_waitcnt lgkmcnt(0)
	v_mul_f32_e32 v5, v30, v24
	v_fma_f32 v28, v27, v3, -v2
	v_fmac_f32_e32 v9, v27, v4
	v_mul_f32_e32 v27, v30, v23
	s_waitcnt vmcnt(0)
	v_mul_f32_e32 v2, v26, v8
	v_fma_f32 v30, v29, v23, -v5
	v_fmac_f32_e32 v27, v29, v24
	v_mul_f32_e32 v29, v25, v8
	v_fma_f32 v25, v25, v7, -v2
	v_and_b32_e32 v2, 31, v39
	v_lshrrev_b32_e32 v4, 2, v39
	v_lshl_add_u32 v2, v2, 3, 0
	v_and_b32_e32 v4, 0xf8, v4
	v_lshrrev_b32_e32 v5, 7, v39
	v_add_u32_e32 v2, 0x4000, v2
	v_add_u32_e32 v4, s1, v4
	v_and_b32_e32 v5, 0xf8, v5
	v_fmac_f32_e32 v29, v26, v7
	ds_read2_b32 v[2:3], v2 offset1:1
	v_add_u32_e32 v7, s1, v5
	ds_read_b64 v[4:5], v4 offset:256
	v_lshrrev_b32_e32 v8, 2, v32
	v_sub_f32_e32 v19, v21, v19
	v_and_b32_e32 v8, 0xf8, v8
	v_sub_f32_e32 v26, v22, v42
	s_waitcnt lgkmcnt(0)
	v_mul_f32_e32 v23, v3, v5
	v_mul_f32_e32 v5, v2, v5
	v_fmac_f32_e32 v5, v3, v4
	v_lshrrev_b32_e32 v3, 2, v0
	v_fma_f32 v39, v2, v4, -v23
	v_and_b32_e32 v2, 31, v20
	v_and_b32_e32 v3, 0xf8, v3
	v_fma_f32 v37, v21, 2.0, -v19
	v_add_u32_e32 v21, s1, v8
	v_lshl_add_u32 v2, v2, 3, 0
	v_add_u32_e32 v3, s1, v3
	v_fma_f32 v38, v22, 2.0, -v26
	ds_read_b64 v[7:8], v7 offset:512
	ds_read_b64 v[21:22], v21 offset:256
	ds_read_b32 v4, v40 offset:16384
	ds_read_b64 v[23:24], v2 offset:16384
	ds_read_b32 v40, v2 offset:16388
	ds_read_b64 v[2:3], v3 offset:256
	v_lshrrev_b32_e32 v0, 7, v0
	v_and_b32_e32 v0, 0xf8, v0
	v_add_u32_e32 v0, s1, v0
	v_sub_f32_e32 v29, v41, v29
	s_waitcnt lgkmcnt(0)
	v_mul_f32_e32 v42, v24, v3
	v_fma_f32 v42, v4, v2, -v42
	v_mul_f32_e32 v4, v4, v3
	v_fmac_f32_e32 v4, v24, v2
	ds_read_b64 v[2:3], v0 offset:512
	v_sub_f32_e32 v25, v31, v25
	v_fma_f32 v31, v31, 2.0, -v25
	v_mul_lo_u32 v1, v18, v1
	v_lshrrev_b32_e32 v18, 7, v20
	s_waitcnt lgkmcnt(0)
	v_mul_f32_e32 v0, v4, v3
	v_fma_f32 v24, v2, v42, -v0
	v_mul_f32_e32 v0, v42, v3
	v_fmac_f32_e32 v0, v2, v4
	v_sub_f32_e32 v4, v30, v36
	v_sub_f32_e32 v36, v27, v44
	v_fma_f32 v2, v30, 2.0, -v4
	v_sub_f32_e32 v30, v9, v43
	v_fma_f32 v3, v27, 2.0, -v36
	v_sub_f32_e32 v27, v28, v35
	v_fma_f32 v9, v9, 2.0, -v30
	v_fma_f32 v35, v41, 2.0, -v29
	v_fma_f32 v28, v28, 2.0, -v27
	v_sub_f32_e32 v42, v38, v3
	v_sub_f32_e32 v35, v9, v35
	;; [unrolled: 1-line block ×3, first 2 shown]
	v_fma_f32 v3, v38, 2.0, -v42
	v_sub_f32_e32 v31, v28, v31
	v_fma_f32 v9, v9, 2.0, -v35
	v_fma_f32 v2, v37, 2.0, -v41
	v_fma_f32 v28, v28, 2.0, -v31
	v_sub_f32_e32 v38, v3, v9
	v_sub_f32_e32 v37, v2, v28
	v_fma_f32 v28, v3, 2.0, -v38
	v_fma_f32 v9, v2, 2.0, -v37
	v_mul_f32_e32 v2, v28, v0
	v_fma_f32 v2, v9, v24, -v2
	v_mul_f32_e32 v3, v9, v0
	v_sub_f32_e32 v9, v19, v36
	v_add_f32_e32 v4, v26, v4
	v_fma_f32 v36, v19, 2.0, -v9
	v_sub_f32_e32 v29, v27, v29
	v_fma_f32 v26, v26, 2.0, -v4
	v_add_f32_e32 v25, v30, v25
	v_fma_f32 v0, v27, 2.0, -v29
	v_mov_b32_e32 v43, v36
	v_fma_f32 v19, v30, 2.0, -v25
	v_fmac_f32_e32 v43, 0xbf3504f3, v0
	v_mov_b32_e32 v44, v26
	v_fmac_f32_e32 v44, 0xbf3504f3, v19
	v_fmac_f32_e32 v43, 0xbf3504f3, v19
	v_mov_b32_e32 v19, v4
	v_fmac_f32_e32 v44, 0x3f3504f3, v0
	v_mov_b32_e32 v0, v9
	v_fmac_f32_e32 v19, 0x3f3504f3, v25
	v_fmac_f32_e32 v0, 0x3f3504f3, v29
	;; [unrolled: 1-line block ×4, first 2 shown]
	v_fma_f32 v25, v36, 2.0, -v43
	v_add_f32_e32 v36, v42, v31
	v_fma_f32 v31, v4, 2.0, -v19
	v_mul_f32_e32 v4, v5, v8
	v_fma_f32 v29, v9, 2.0, -v0
	v_fma_f32 v9, v7, v39, -v4
	v_and_b32_e32 v4, 31, v32
	v_lshl_add_u32 v4, v4, 3, 0
	v_fmac_f32_e32 v3, v28, v24
	v_mul_f32_e32 v24, v39, v8
	v_add_u32_e32 v4, 0x4000, v4
	v_fmac_f32_e32 v24, v7, v5
	ds_read2_b32 v[7:8], v4 offset1:1
	v_fma_f32 v26, v26, 2.0, -v44
	v_mul_f32_e32 v4, v26, v24
	v_mul_f32_e32 v5, v25, v24
	v_fma_f32 v4, v25, v9, -v4
	v_fmac_f32_e32 v5, v26, v9
	s_waitcnt lgkmcnt(0)
	v_mul_f32_e32 v9, v8, v22
	v_fma_f32 v26, v7, v21, -v9
	v_mul_f32_e32 v28, v7, v22
	v_lshrrev_b32_e32 v7, 7, v32
	v_and_b32_e32 v7, 0xf8, v7
	v_lshrrev_b32_e32 v9, 2, v6
	v_fmac_f32_e32 v28, v8, v21
	v_add_u32_e32 v7, s1, v7
	v_and_b32_e32 v8, 31, v6
	v_and_b32_e32 v9, 0xf8, v9
	v_lshrrev_b32_e32 v6, 7, v6
	v_add_u32_e32 v21, s1, v9
	v_and_b32_e32 v9, 0xf8, v6
	ds_read_b64 v[6:7], v7 offset:512
	v_lshl_add_u32 v8, v8, 3, 0
	v_add_u32_e32 v24, s1, v9
	ds_read_b64 v[8:9], v8 offset:16384
	ds_read_b64 v[21:22], v21 offset:256
	;; [unrolled: 1-line block ×3, first 2 shown]
	v_sub_f32_e32 v35, v41, v35
	s_waitcnt lgkmcnt(3)
	v_mul_f32_e32 v32, v28, v7
	v_fma_f32 v32, v6, v26, -v32
	v_mul_f32_e32 v7, v26, v7
	s_waitcnt lgkmcnt(1)
	v_mul_f32_e32 v26, v9, v22
	v_fma_f32 v26, v8, v21, -v26
	v_mul_f32_e32 v8, v8, v22
	v_fmac_f32_e32 v8, v9, v21
	s_waitcnt lgkmcnt(0)
	v_mul_f32_e32 v9, v8, v25
	v_fma_f32 v21, v24, v26, -v9
	v_mul_f32_e32 v9, v26, v25
	v_fmac_f32_e32 v9, v24, v8
	v_lshrrev_b32_e32 v25, 7, v33
	v_mul_f32_e32 v8, v31, v9
	v_mul_f32_e32 v9, v29, v9
	v_and_b32_e32 v25, 0xf8, v25
	v_fma_f32 v8, v29, v21, -v8
	v_fmac_f32_e32 v9, v31, v21
	v_and_b32_e32 v21, 31, v33
	v_lshrrev_b32_e32 v24, 2, v33
	v_add_u32_e32 v26, s1, v25
	v_lshrrev_b32_e32 v25, 2, v34
	v_fma_f32 v30, v42, 2.0, -v36
	v_fmac_f32_e32 v7, v6, v28
	v_lshl_add_u32 v21, v21, 3, 0
	v_and_b32_e32 v24, 0xf8, v24
	v_and_b32_e32 v25, 0xf8, v25
	v_fma_f32 v27, v41, 2.0, -v35
	v_mul_f32_e32 v6, v30, v7
	v_add_u32_e32 v21, 0x4000, v21
	v_add_u32_e32 v24, s1, v24
	;; [unrolled: 1-line block ×3, first 2 shown]
	v_lshrrev_b32_e32 v25, 7, v34
	v_fma_f32 v6, v27, v32, -v6
	v_mul_f32_e32 v7, v27, v7
	ds_read2_b32 v[21:22], v21 offset1:1
	v_and_b32_e32 v27, 0xf8, v25
	ds_read_b64 v[24:25], v24 offset:256
	v_fmac_f32_e32 v7, v30, v32
	v_add_u32_e32 v30, s1, v27
	ds_read_b64 v[26:27], v26 offset:512
	ds_read_b64 v[28:29], v28 offset:256
	;; [unrolled: 1-line block ×3, first 2 shown]
	v_and_b32_e32 v18, 0xf8, v18
	s_waitcnt lgkmcnt(3)
	v_mul_f32_e32 v32, v22, v25
	v_fma_f32 v32, v21, v24, -v32
	v_mul_f32_e32 v21, v21, v25
	v_fmac_f32_e32 v21, v22, v24
	s_waitcnt lgkmcnt(2)
	v_mul_f32_e32 v25, v32, v27
	v_mul_f32_e32 v22, v21, v27
	v_fmac_f32_e32 v25, v26, v21
	v_and_b32_e32 v21, 31, v34
	v_lshl_add_u32 v21, v21, 3, 0
	v_add_u32_e32 v21, 0x4000, v21
	v_fma_f32 v33, v26, v32, -v22
	ds_read2_b32 v[21:22], v21 offset1:1
	v_mul_f32_e32 v24, v38, v25
	v_mul_f32_e32 v25, v37, v25
	v_add_u32_e32 v18, s1, v18
	v_fma_f32 v24, v37, v33, -v24
	s_waitcnt lgkmcnt(0)
	v_mul_f32_e32 v26, v22, v29
	v_fma_f32 v26, v21, v28, -v26
	v_mul_f32_e32 v21, v21, v29
	v_fmac_f32_e32 v21, v22, v28
	v_mul_f32_e32 v22, v21, v31
	v_fma_f32 v27, v30, v26, -v22
	v_mul_f32_e32 v22, v26, v31
	v_fmac_f32_e32 v22, v30, v21
	v_lshrrev_b32_e32 v26, 2, v20
	v_mul_f32_e32 v21, v44, v22
	v_mul_f32_e32 v22, v43, v22
	v_and_b32_e32 v26, 0xf8, v26
	v_fma_f32 v21, v43, v27, -v21
	v_fmac_f32_e32 v22, v44, v27
	v_add_u32_e32 v26, s1, v26
	v_lshrrev_b32_e32 v27, 2, v1
	v_and_b32_e32 v28, 0xf8, v27
	ds_read_b64 v[26:27], v26 offset:256
	v_and_b32_e32 v20, 31, v1
	v_add_u32_e32 v32, s1, v28
	v_fmac_f32_e32 v25, v38, v33
	v_lshl_add_u32 v20, v20, 3, 0
	ds_read_b64 v[28:29], v18 offset:512
	ds_read_b64 v[30:31], v20 offset:16384
	;; [unrolled: 1-line block ×3, first 2 shown]
	s_waitcnt lgkmcnt(3)
	v_mul_f32_e32 v20, v23, v27
	v_mul_f32_e32 v18, v40, v27
	v_fmac_f32_e32 v20, v40, v26
	v_lshrrev_b32_e32 v1, 7, v1
	v_fma_f32 v18, v23, v26, -v18
	s_waitcnt lgkmcnt(2)
	v_mul_f32_e32 v23, v20, v29
	v_and_b32_e32 v1, 0xf8, v1
	v_fma_f32 v23, v28, v18, -v23
	v_mul_f32_e32 v18, v18, v29
	v_add_u32_e32 v1, s1, v1
	v_fmac_f32_e32 v18, v28, v20
	ds_read_b64 v[28:29], v1 offset:512
	v_mul_f32_e32 v20, v36, v18
	v_mul_f32_e32 v27, v35, v18
	s_waitcnt lgkmcnt(1)
	v_mul_f32_e32 v18, v30, v33
	v_mul_f32_e32 v1, v31, v33
	v_fmac_f32_e32 v18, v31, v32
	v_fma_f32 v26, v35, v23, -v20
	v_fma_f32 v1, v30, v32, -v1
	s_waitcnt lgkmcnt(0)
	v_mul_f32_e32 v20, v18, v29
	v_fma_f32 v20, v28, v1, -v20
	v_mul_f32_e32 v1, v1, v29
	v_fmac_f32_e32 v1, v28, v18
	v_mul_f32_e32 v18, v19, v1
	v_mul_f32_e32 v29, v0, v1
	v_fmac_f32_e32 v27, v36, v23
	v_fma_f32 v28, v0, v20, -v18
	v_fmac_f32_e32 v29, v19, v20
	buffer_store_dwordx2 v[2:3], v11, s[8:11], s0 offen
	buffer_store_dwordx2 v[4:5], v13, s[8:11], s0 offen
	;; [unrolled: 1-line block ×8, first 2 shown]
	s_endpgm
	.section	.rodata,"a",@progbits
	.p2align	6, 0x0
	.amdhsa_kernel fft_rtc_fwd_len256_factors_8_4_8_wgs_256_tpt_32_sp_ip_CI_sbcc_twdbase5_3step_dirReg_intrinsicReadWrite
		.amdhsa_group_segment_fixed_size 0
		.amdhsa_private_segment_fixed_size 0
		.amdhsa_kernarg_size 96
		.amdhsa_user_sgpr_count 6
		.amdhsa_user_sgpr_private_segment_buffer 1
		.amdhsa_user_sgpr_dispatch_ptr 0
		.amdhsa_user_sgpr_queue_ptr 0
		.amdhsa_user_sgpr_kernarg_segment_ptr 1
		.amdhsa_user_sgpr_dispatch_id 0
		.amdhsa_user_sgpr_flat_scratch_init 0
		.amdhsa_user_sgpr_private_segment_size 0
		.amdhsa_uses_dynamic_stack 0
		.amdhsa_system_sgpr_private_segment_wavefront_offset 0
		.amdhsa_system_sgpr_workgroup_id_x 1
		.amdhsa_system_sgpr_workgroup_id_y 0
		.amdhsa_system_sgpr_workgroup_id_z 0
		.amdhsa_system_sgpr_workgroup_info 0
		.amdhsa_system_vgpr_workitem_id 0
		.amdhsa_next_free_vgpr 45
		.amdhsa_next_free_sgpr 39
		.amdhsa_reserve_vcc 1
		.amdhsa_reserve_flat_scratch 0
		.amdhsa_float_round_mode_32 0
		.amdhsa_float_round_mode_16_64 0
		.amdhsa_float_denorm_mode_32 3
		.amdhsa_float_denorm_mode_16_64 3
		.amdhsa_dx10_clamp 1
		.amdhsa_ieee_mode 1
		.amdhsa_fp16_overflow 0
		.amdhsa_exception_fp_ieee_invalid_op 0
		.amdhsa_exception_fp_denorm_src 0
		.amdhsa_exception_fp_ieee_div_zero 0
		.amdhsa_exception_fp_ieee_overflow 0
		.amdhsa_exception_fp_ieee_underflow 0
		.amdhsa_exception_fp_ieee_inexact 0
		.amdhsa_exception_int_div_zero 0
	.end_amdhsa_kernel
	.text
.Lfunc_end0:
	.size	fft_rtc_fwd_len256_factors_8_4_8_wgs_256_tpt_32_sp_ip_CI_sbcc_twdbase5_3step_dirReg_intrinsicReadWrite, .Lfunc_end0-fft_rtc_fwd_len256_factors_8_4_8_wgs_256_tpt_32_sp_ip_CI_sbcc_twdbase5_3step_dirReg_intrinsicReadWrite
                                        ; -- End function
	.section	.AMDGPU.csdata,"",@progbits
; Kernel info:
; codeLenInByte = 4388
; NumSgprs: 43
; NumVgprs: 45
; ScratchSize: 0
; MemoryBound: 0
; FloatMode: 240
; IeeeMode: 1
; LDSByteSize: 0 bytes/workgroup (compile time only)
; SGPRBlocks: 5
; VGPRBlocks: 11
; NumSGPRsForWavesPerEU: 43
; NumVGPRsForWavesPerEU: 45
; Occupancy: 5
; WaveLimiterHint : 0
; COMPUTE_PGM_RSRC2:SCRATCH_EN: 0
; COMPUTE_PGM_RSRC2:USER_SGPR: 6
; COMPUTE_PGM_RSRC2:TRAP_HANDLER: 0
; COMPUTE_PGM_RSRC2:TGID_X_EN: 1
; COMPUTE_PGM_RSRC2:TGID_Y_EN: 0
; COMPUTE_PGM_RSRC2:TGID_Z_EN: 0
; COMPUTE_PGM_RSRC2:TIDIG_COMP_CNT: 0
	.type	__hip_cuid_f10f933142c35df5,@object ; @__hip_cuid_f10f933142c35df5
	.section	.bss,"aw",@nobits
	.globl	__hip_cuid_f10f933142c35df5
__hip_cuid_f10f933142c35df5:
	.byte	0                               ; 0x0
	.size	__hip_cuid_f10f933142c35df5, 1

	.ident	"AMD clang version 19.0.0git (https://github.com/RadeonOpenCompute/llvm-project roc-6.4.0 25133 c7fe45cf4b819c5991fe208aaa96edf142730f1d)"
	.section	".note.GNU-stack","",@progbits
	.addrsig
	.addrsig_sym __hip_cuid_f10f933142c35df5
	.amdgpu_metadata
---
amdhsa.kernels:
  - .args:
      - .actual_access:  read_only
        .address_space:  global
        .offset:         0
        .size:           8
        .value_kind:     global_buffer
      - .address_space:  global
        .offset:         8
        .size:           8
        .value_kind:     global_buffer
      - .offset:         16
        .size:           8
        .value_kind:     by_value
      - .actual_access:  read_only
        .address_space:  global
        .offset:         24
        .size:           8
        .value_kind:     global_buffer
      - .actual_access:  read_only
        .address_space:  global
        .offset:         32
        .size:           8
        .value_kind:     global_buffer
      - .offset:         40
        .size:           8
        .value_kind:     by_value
      - .actual_access:  read_only
        .address_space:  global
        .offset:         48
        .size:           8
        .value_kind:     global_buffer
      - .actual_access:  read_only
        .address_space:  global
        .offset:         56
        .size:           8
        .value_kind:     global_buffer
      - .offset:         64
        .size:           4
        .value_kind:     by_value
      - .actual_access:  read_only
        .address_space:  global
        .offset:         72
        .size:           8
        .value_kind:     global_buffer
      - .actual_access:  read_only
        .address_space:  global
        .offset:         80
        .size:           8
        .value_kind:     global_buffer
      - .address_space:  global
        .offset:         88
        .size:           8
        .value_kind:     global_buffer
    .group_segment_fixed_size: 0
    .kernarg_segment_align: 8
    .kernarg_segment_size: 96
    .language:       OpenCL C
    .language_version:
      - 2
      - 0
    .max_flat_workgroup_size: 256
    .name:           fft_rtc_fwd_len256_factors_8_4_8_wgs_256_tpt_32_sp_ip_CI_sbcc_twdbase5_3step_dirReg_intrinsicReadWrite
    .private_segment_fixed_size: 0
    .sgpr_count:     43
    .sgpr_spill_count: 0
    .symbol:         fft_rtc_fwd_len256_factors_8_4_8_wgs_256_tpt_32_sp_ip_CI_sbcc_twdbase5_3step_dirReg_intrinsicReadWrite.kd
    .uniform_work_group_size: 1
    .uses_dynamic_stack: false
    .vgpr_count:     45
    .vgpr_spill_count: 0
    .wavefront_size: 64
amdhsa.target:   amdgcn-amd-amdhsa--gfx906
amdhsa.version:
  - 1
  - 2
...

	.end_amdgpu_metadata
